;; amdgpu-corpus repo=ROCm/rocFFT kind=compiled arch=gfx1030 opt=O3
	.text
	.amdgcn_target "amdgcn-amd-amdhsa--gfx1030"
	.amdhsa_code_object_version 6
	.protected	fft_rtc_fwd_len128_factors_8_4_2_2_wgs_128_tpt_8_dim3_sp_ip_CI_sbcc_twdbase8_3step_dirReg_intrinsicReadWrite ; -- Begin function fft_rtc_fwd_len128_factors_8_4_2_2_wgs_128_tpt_8_dim3_sp_ip_CI_sbcc_twdbase8_3step_dirReg_intrinsicReadWrite
	.globl	fft_rtc_fwd_len128_factors_8_4_2_2_wgs_128_tpt_8_dim3_sp_ip_CI_sbcc_twdbase8_3step_dirReg_intrinsicReadWrite
	.p2align	8
	.type	fft_rtc_fwd_len128_factors_8_4_2_2_wgs_128_tpt_8_dim3_sp_ip_CI_sbcc_twdbase8_3step_dirReg_intrinsicReadWrite,@function
fft_rtc_fwd_len128_factors_8_4_2_2_wgs_128_tpt_8_dim3_sp_ip_CI_sbcc_twdbase8_3step_dirReg_intrinsicReadWrite: ; @fft_rtc_fwd_len128_factors_8_4_2_2_wgs_128_tpt_8_dim3_sp_ip_CI_sbcc_twdbase8_3step_dirReg_intrinsicReadWrite
; %bb.0:
	s_load_dwordx4 s[0:3], s[4:5], 0x10
	s_mov_b32 s7, 0
	s_mov_b64 s[18:19], 0
	s_waitcnt lgkmcnt(0)
	s_load_dwordx2 s[14:15], s[0:1], 0x8
	s_waitcnt lgkmcnt(0)
	s_add_u32 s8, s14, -1
	s_addc_u32 s9, s15, -1
	s_lshr_b64 s[8:9], s[8:9], 4
	s_add_u32 s16, s8, 1
	s_addc_u32 s17, s9, 0
	v_cmp_lt_u64_e64 s8, s[6:7], s[16:17]
	s_and_b32 vcc_lo, exec_lo, s8
	s_cbranch_vccnz .LBB0_2
; %bb.1:
	v_cvt_f32_u32_e32 v1, s16
	s_sub_i32 s9, 0, s16
	s_mov_b32 s19, s7
	v_rcp_iflag_f32_e32 v1, v1
	v_mul_f32_e32 v1, 0x4f7ffffe, v1
	v_cvt_u32_f32_e32 v1, v1
	v_readfirstlane_b32 s8, v1
	s_mul_i32 s9, s9, s8
	s_mul_hi_u32 s9, s8, s9
	s_add_i32 s8, s8, s9
	s_mul_hi_u32 s8, s6, s8
	s_mul_i32 s9, s8, s16
	s_add_i32 s10, s8, 1
	s_sub_i32 s9, s6, s9
	s_sub_i32 s11, s9, s16
	s_cmp_ge_u32 s9, s16
	s_cselect_b32 s8, s10, s8
	s_cselect_b32 s9, s11, s9
	s_add_i32 s10, s8, 1
	s_cmp_ge_u32 s9, s16
	s_cselect_b32 s18, s10, s8
.LBB0_2:
	s_load_dwordx2 s[20:21], s[0:1], 0x10
	s_clause 0x1
	s_load_dwordx2 s[0:1], s[4:5], 0x50
	s_load_dwordx2 s[12:13], s[4:5], 0x0
	s_load_dwordx4 s[8:11], s[2:3], 0x0
	s_mov_b64 s[22:23], s[18:19]
	s_waitcnt lgkmcnt(0)
	v_cmp_lt_u64_e64 s9, s[18:19], s[20:21]
	s_and_b32 vcc_lo, exec_lo, s9
	s_cbranch_vccnz .LBB0_4
; %bb.3:
	v_cvt_f32_u32_e32 v1, s20
	s_sub_i32 s11, 0, s20
	v_rcp_iflag_f32_e32 v1, v1
	v_mul_f32_e32 v1, 0x4f7ffffe, v1
	v_cvt_u32_f32_e32 v1, v1
	v_readfirstlane_b32 s9, v1
	s_mul_i32 s11, s11, s9
	s_mul_hi_u32 s11, s9, s11
	s_add_i32 s9, s9, s11
	s_mul_hi_u32 s9, s18, s9
	s_mul_i32 s9, s9, s20
	s_sub_i32 s9, s18, s9
	s_sub_i32 s11, s9, s20
	s_cmp_ge_u32 s9, s20
	s_cselect_b32 s9, s11, s9
	s_sub_i32 s11, s9, s20
	s_cmp_ge_u32 s9, s20
	s_cselect_b32 s22, s11, s9
.LBB0_4:
	s_load_dwordx2 s[24:25], s[2:3], 0x10
	s_mul_i32 s9, s20, s17
	s_mul_hi_u32 s11, s20, s16
	s_mul_i32 s26, s20, s16
	s_add_i32 s9, s11, s9
	s_mul_i32 s11, s21, s16
	s_mov_b64 s[20:21], 0
	s_add_i32 s27, s9, s11
	v_cmp_lt_u64_e64 s7, s[6:7], s[26:27]
	s_and_b32 vcc_lo, exec_lo, s7
	s_cbranch_vccnz .LBB0_6
; %bb.5:
	v_cvt_f32_u32_e32 v1, s26
	s_sub_i32 s9, 0, s26
	v_rcp_iflag_f32_e32 v1, v1
	v_mul_f32_e32 v1, 0x4f7ffffe, v1
	v_cvt_u32_f32_e32 v1, v1
	v_readfirstlane_b32 s7, v1
	s_mul_i32 s9, s9, s7
	s_mul_hi_u32 s9, s7, s9
	s_add_i32 s7, s7, s9
	s_mul_hi_u32 s7, s6, s7
	s_mul_i32 s9, s7, s26
	s_add_i32 s11, s7, 1
	s_sub_i32 s9, s6, s9
	s_sub_i32 s19, s9, s26
	s_cmp_ge_u32 s9, s26
	s_cselect_b32 s7, s11, s7
	s_cselect_b32 s9, s19, s9
	s_add_i32 s11, s7, 1
	s_cmp_ge_u32 s9, s26
	s_cselect_b32 s20, s11, s7
.LBB0_6:
	s_load_dword s7, s[2:3], 0x18
	s_mul_i32 s2, s18, s17
	s_mul_hi_u32 s3, s18, s16
	s_mul_i32 s9, s18, s16
	v_lshrrev_b32_e32 v31, 4, v0
	s_add_i32 s3, s3, s2
	s_sub_u32 s2, s6, s9
	s_subb_u32 s3, 0, s3
	v_and_b32_e32 v30, 15, v0
	s_lshl_b64 s[2:3], s[2:3], 4
	v_or_b32_e32 v2, 32, v31
	s_waitcnt lgkmcnt(0)
	s_mul_i32 s11, s24, s22
	v_or_b32_e32 v6, 16, v31
	s_mul_i32 s6, s10, s2
	v_mul_lo_u32 v22, s10, v30
	s_add_i32 s11, s11, s6
	v_mul_lo_u32 v3, s8, v31
	v_or_b32_e32 v0, s2, v30
	v_mov_b32_e32 v1, s3
	v_mul_lo_u32 v5, s8, v2
	s_mul_i32 s6, s7, s20
	v_mul_lo_u32 v4, s8, v6
	s_add_i32 s6, s6, s11
	s_add_u32 s2, s2, 16
	s_addc_u32 s3, s3, 0
	v_cmp_gt_u64_e32 vcc_lo, s[14:15], v[0:1]
	v_cmp_le_u64_e64 s7, s[2:3], s[14:15]
	v_add_lshl_u32 v1, v22, v3, 3
	v_add_lshl_u32 v3, v22, v5, 3
	v_or_b32_e32 v33, 64, v31
	v_add_lshl_u32 v7, v22, v4, 3
	v_or_b32_e32 v4, 0x60, v31
	s_or_b32 vcc_lo, s7, vcc_lo
	v_or_b32_e32 v25, 0x50, v31
	v_cndmask_b32_e32 v9, -1, v1, vcc_lo
	v_or_b32_e32 v1, 48, v31
	v_cndmask_b32_e32 v8, -1, v3, vcc_lo
	v_mul_lo_u32 v5, s8, v33
	v_or_b32_e32 v3, 0x70, v31
	v_mul_lo_u32 v10, s8, v4
	v_mul_lo_u32 v13, s8, v25
	;; [unrolled: 1-line block ×3, first 2 shown]
	v_cndmask_b32_e32 v11, -1, v7, vcc_lo
	v_mul_lo_u32 v15, s8, v3
	s_mov_b32 s3, 0x31014000
	v_add_lshl_u32 v5, v22, v5, 3
	s_mov_b32 s2, -2
	v_add_lshl_u32 v7, v22, v10, 3
	v_add_lshl_u32 v13, v22, v13, 3
	;; [unrolled: 1-line block ×3, first 2 shown]
	v_cndmask_b32_e32 v14, -1, v5, vcc_lo
	v_add_lshl_u32 v5, v22, v15, 3
	v_cndmask_b32_e32 v12, -1, v7, vcc_lo
	v_cndmask_b32_e32 v15, -1, v13, vcc_lo
	s_lshl_b32 s6, s6, 3
	v_cndmask_b32_e32 v10, -1, v10, vcc_lo
	v_cndmask_b32_e32 v13, -1, v5, vcc_lo
	s_clause 0x7
	buffer_load_dwordx2 v[23:24], v9, s[0:3], s6 offen
	buffer_load_dwordx2 v[28:29], v14, s[0:3], s6 offen
	;; [unrolled: 1-line block ×8, first 2 shown]
	v_or_b32_e32 v34, 8, v31
	v_or_b32_e32 v32, 0x48, v31
	;; [unrolled: 1-line block ×6, first 2 shown]
	v_mul_lo_u32 v16, s8, v34
	v_mul_lo_u32 v19, s8, v32
	;; [unrolled: 1-line block ×6, first 2 shown]
	v_lshlrev_b32_e32 v60, 10, v31
	s_load_dwordx2 s[4:5], s[4:5], 0x8
	v_add_lshl_u32 v16, v22, v16, 3
	v_add_lshl_u32 v19, v22, v19, 3
	;; [unrolled: 1-line block ×6, first 2 shown]
	v_cndmask_b32_e32 v21, -1, v16, vcc_lo
	v_cndmask_b32_e32 v20, -1, v19, vcc_lo
	;; [unrolled: 1-line block ×6, first 2 shown]
	s_clause 0x5
	buffer_load_dwordx2 v[48:49], v21, s[0:3], s6 offen
	buffer_load_dwordx2 v[50:51], v20, s[0:3], s6 offen
	;; [unrolled: 1-line block ×6, first 2 shown]
	v_lshlrev_b32_e32 v41, 3, v30
	v_mov_b32_e32 v86, 3
	v_mul_lo_u32 v32, v0, v32
	v_mul_lo_u32 v25, v0, v25
	v_mul_lo_u32 v26, v0, v26
	v_mul_lo_u32 v4, v0, v4
	v_mul_lo_u32 v7, v0, v7
	v_mul_lo_u32 v3, v0, v3
	s_waitcnt vmcnt(12)
	v_sub_f32_e32 v62, v23, v28
	v_sub_f32_e32 v63, v24, v29
	s_waitcnt vmcnt(10)
	v_sub_f32_e32 v30, v35, v37
	v_sub_f32_e32 v38, v36, v38
	;; [unrolled: 3-line block ×4, first 2 shown]
	v_fma_f32 v40, v23, 2.0, -v62
	v_fma_f32 v29, v24, 2.0, -v63
	v_fma_f32 v23, v35, 2.0, -v30
	v_fma_f32 v24, v36, 2.0, -v38
	v_fma_f32 v37, v42, 2.0, -v64
	v_fma_f32 v28, v43, 2.0, -v65
	v_fma_f32 v35, v44, 2.0, -v39
	v_fma_f32 v36, v45, 2.0, -v46
	v_sub_f32_e32 v47, v62, v38
	v_add_f32_e32 v66, v63, v30
	v_sub_f32_e32 v67, v64, v46
	v_add_f32_e32 v68, v65, v39
	v_sub_f32_e32 v42, v40, v23
	v_sub_f32_e32 v38, v29, v24
	;; [unrolled: 1-line block ×4, first 2 shown]
	v_fmamk_f32 v43, v67, 0x3f3504f3, v47
	v_fmamk_f32 v44, v68, 0x3f3504f3, v66
	v_or_b32_e32 v36, 56, v31
	v_add3_u32 v24, 0, v60, v41
	v_sub_f32_e32 v45, v42, v30
	v_add_f32_e32 v46, v38, v39
	v_fmac_f32_e32 v43, 0xbf3504f3, v68
	v_fmac_f32_e32 v44, 0x3f3504f3, v67
	v_or_b32_e32 v35, 0x78, v31
	v_mul_lo_u32 v23, s8, v36
	v_fma_f32 v60, v42, 2.0, -v45
	v_fma_f32 v61, v38, 2.0, -v46
	ds_write2_b64 v24, v[45:46], v[43:44] offset0:96 offset1:112
	v_mul_lo_u32 v45, s8, v35
	s_waitcnt vmcnt(4)
	v_sub_f32_e32 v69, v48, v50
	v_sub_f32_e32 v70, v49, v51
	s_waitcnt vmcnt(2)
	v_sub_f32_e32 v55, v53, v55
	v_add_lshl_u32 v23, v22, v23, 3
	s_waitcnt vmcnt(0)
	v_sub_f32_e32 v58, v56, v58
	v_sub_f32_e32 v54, v52, v54
	;; [unrolled: 1-line block ×3, first 2 shown]
	v_add_lshl_u32 v45, v22, v45, 3
	v_cndmask_b32_e32 v22, -1, v23, vcc_lo
	v_fma_f32 v42, v40, 2.0, -v42
	v_lshlrev_b32_e32 v40, 10, v34
	v_fma_f32 v53, v53, 2.0, -v55
	v_cndmask_b32_e32 v23, -1, v45, vcc_lo
	s_clause 0x1
	buffer_load_dwordx2 v[45:46], v22, s[0:3], s6 offen
	buffer_load_dwordx2 v[50:51], v23, s[0:3], s6 offen
	v_sub_f32_e32 v55, v69, v55
	v_fma_f32 v44, v66, 2.0, -v44
	v_fma_f32 v48, v48, 2.0, -v69
	;; [unrolled: 1-line block ×9, first 2 shown]
	v_add3_u32 v66, 0, v40, v41
	v_add_f32_e32 v54, v70, v54
	v_fma_f32 v43, v47, 2.0, -v43
	v_fma_f32 v47, v65, 2.0, -v68
	v_sub_f32_e32 v52, v48, v52
	v_sub_f32_e32 v53, v49, v53
	v_fma_f32 v67, v69, 2.0, -v55
	v_fma_f32 v68, v70, 2.0, -v54
	;; [unrolled: 1-line block ×4, first 2 shown]
	v_mul_u32_u24_e32 v65, 3, v31
	v_fma_f32 v70, v48, 2.0, -v52
	v_fma_f32 v71, v49, 2.0, -v53
	v_lshlrev_b32_e32 v65, 3, v65
	s_waitcnt vmcnt(0)
	v_sub_f32_e32 v51, v46, v51
	v_sub_f32_e32 v50, v45, v50
	v_fma_f32 v46, v46, 2.0, -v51
	v_sub_f32_e32 v51, v58, v51
	v_fma_f32 v45, v45, 2.0, -v50
	v_add_f32_e32 v40, v59, v50
	v_fma_f32 v50, v37, 2.0, -v39
	v_sub_f32_e32 v46, v57, v46
	v_fmamk_f32 v37, v51, 0x3f3504f3, v55
	v_sub_f32_e32 v45, v56, v45
	v_fma_f32 v58, v58, 2.0, -v51
	v_fma_f32 v59, v59, 2.0, -v40
	v_fmamk_f32 v39, v64, 0xbf3504f3, v62
	v_fmamk_f32 v38, v40, 0x3f3504f3, v54
	v_fmac_f32_e32 v37, 0xbf3504f3, v40
	v_fmamk_f32 v40, v47, 0xbf3504f3, v63
	v_fma_f32 v56, v56, 2.0, -v45
	v_fma_f32 v57, v57, 2.0, -v46
	v_fmac_f32_e32 v39, 0xbf3504f3, v47
	v_fmamk_f32 v47, v58, 0xbf3504f3, v67
	v_fmamk_f32 v48, v59, 0xbf3504f3, v68
	v_sub_f32_e32 v28, v52, v46
	v_add_f32_e32 v29, v53, v45
	v_fmac_f32_e32 v38, 0x3f3504f3, v51
	v_sub_f32_e32 v45, v42, v50
	v_sub_f32_e32 v46, v69, v30
	v_fmac_f32_e32 v40, 0x3f3504f3, v64
	v_sub_f32_e32 v49, v70, v56
	v_sub_f32_e32 v50, v71, v57
	v_fmac_f32_e32 v47, 0xbf3504f3, v59
	v_fmac_f32_e32 v48, 0x3f3504f3, v58
	v_fma_f32 v51, v52, 2.0, -v28
	v_fma_f32 v52, v53, 2.0, -v29
	;; [unrolled: 1-line block ×4, first 2 shown]
	ds_write2_b64 v66, v[28:29], v[37:38] offset0:96 offset1:112
	v_fma_f32 v28, v42, 2.0, -v45
	v_fma_f32 v29, v69, 2.0, -v46
	;; [unrolled: 1-line block ×8, first 2 shown]
	ds_write2_b64 v24, v[60:61], v[43:44] offset0:32 offset1:48
	ds_write2_b64 v24, v[45:46], v[39:40] offset0:64 offset1:80
	;; [unrolled: 1-line block ×4, first 2 shown]
	ds_write2_b64 v24, v[28:29], v[37:38] offset1:16
	ds_write2_b64 v66, v[55:56], v[57:58] offset1:16
	s_waitcnt lgkmcnt(0)
	s_barrier
	buffer_gl0_inv
	s_clause 0x1
	global_load_dwordx4 v[47:50], v65, s[12:13]
	global_load_dwordx2 v[28:29], v65, s[12:13] offset:16
	v_lshlrev_b32_e32 v30, 7, v2
	v_mad_i32_i24 v37, 0xfffffc80, v31, v24
	v_add3_u32 v24, 0, v30, v41
	v_add_nc_u32_e32 v30, 0x1400, v37
	ds_read_b64 v[39:40], v24
	ds_read2st64_b64 v[42:45], v37 offset0:16 offset1:18
	ds_read2_b32 v[59:60], v30 offset1:1
	ds_read2st64_b64 v[51:54], v37 offset0:12 offset1:14
	ds_read2st64_b64 v[55:58], v37 offset0:20 offset1:22
	s_waitcnt vmcnt(1) lgkmcnt(4)
	v_mul_f32_e32 v30, v48, v40
	s_waitcnt lgkmcnt(3)
	v_mul_f32_e32 v38, v50, v43
	v_mul_f32_e32 v63, v50, v42
	s_waitcnt lgkmcnt(2)
	v_mul_f32_e32 v61, v60, v48
	v_mul_f32_e32 v67, v48, v59
	;; [unrolled: 1-line block ×5, first 2 shown]
	s_waitcnt lgkmcnt(1)
	v_mul_f32_e32 v64, v52, v48
	v_fma_f32 v65, v49, v42, -v38
	v_fmac_f32_e32 v63, v49, v43
	v_fma_f32 v69, v44, v49, -v62
	v_fmac_f32_e32 v68, v45, v49
	v_mul_f32_e32 v38, v51, v48
	s_waitcnt lgkmcnt(0)
	v_mul_f32_e32 v43, v56, v50
	v_mul_f32_e32 v45, v55, v50
	v_mul_f32_e32 v44, v54, v48
	v_fma_f32 v70, v47, v39, -v30
	v_mul_f32_e32 v39, v53, v48
	v_mul_f32_e32 v30, v58, v50
	v_fma_f32 v71, v47, v59, -v61
	v_fmac_f32_e32 v67, v60, v47
	v_mul_f32_e32 v48, v57, v50
	ds_read2st64_b64 v[59:62], v37 offset0:24 offset1:26
	v_fma_f32 v42, v51, v47, -v64
	v_fma_f32 v51, v55, v49, -v43
	v_fmac_f32_e32 v45, v56, v49
	v_fma_f32 v50, v57, v49, -v30
	v_fmac_f32_e32 v48, v58, v49
	ds_read2st64_b64 v[55:58], v37 offset0:28 offset1:30
	v_fmac_f32_e32 v46, v47, v40
	v_fmac_f32_e32 v38, v52, v47
	v_fma_f32 v40, v53, v47, -v44
	v_fmac_f32_e32 v39, v54, v47
	s_waitcnt vmcnt(0) lgkmcnt(1)
	v_mul_f32_e32 v30, v29, v60
	v_mul_f32_e32 v43, v29, v59
	;; [unrolled: 1-line block ×4, first 2 shown]
	v_fma_f32 v59, v28, v59, -v30
	s_waitcnt lgkmcnt(0)
	v_mul_f32_e32 v30, v58, v29
	v_mul_f32_e32 v49, v56, v29
	v_mul_f32_e32 v53, v55, v29
	v_mul_f32_e32 v52, v57, v29
	v_fmac_f32_e32 v43, v28, v60
	v_fma_f32 v54, v57, v28, -v30
	ds_read_b64 v[29:30], v37
	v_fma_f32 v72, v61, v28, -v44
	v_fmac_f32_e32 v47, v62, v28
	v_fma_f32 v55, v55, v28, -v49
	v_fmac_f32_e32 v53, v56, v28
	v_fmac_f32_e32 v52, v58, v28
	v_mad_i32_i24 v28, 0xfffffc80, v34, v66
	v_sub_f32_e32 v56, v46, v43
	v_sub_f32_e32 v57, v70, v59
	v_lshlrev_b32_e32 v49, 7, v6
	v_lshlrev_b32_e32 v62, 7, v31
	ds_read_b64 v[43:44], v28
	v_sub_f32_e32 v47, v67, v47
	v_sub_f32_e32 v53, v38, v53
	;; [unrolled: 1-line block ×4, first 2 shown]
	v_fma_f32 v67, v67, 2.0, -v47
	v_fma_f32 v40, v40, 2.0, -v54
	s_waitcnt lgkmcnt(1)
	v_sub_f32_e32 v60, v29, v65
	v_sub_f32_e32 v61, v30, v63
	v_fma_f32 v66, v29, 2.0, -v60
	v_fma_f32 v73, v30, 2.0, -v61
	;; [unrolled: 1-line block ×4, first 2 shown]
	v_lshlrev_b32_e32 v46, 7, v27
	v_sub_f32_e32 v56, v60, v56
	v_add_f32_e32 v57, v61, v57
	v_sub_f32_e32 v58, v66, v29
	v_sub_f32_e32 v59, v73, v30
	v_add3_u32 v30, 0, v49, v41
	v_add3_u32 v29, 0, v46, v41
	;; [unrolled: 1-line block ×3, first 2 shown]
	v_fma_f32 v61, v61, 2.0, -v57
	ds_read_b64 v[62:63], v30
	ds_read_b64 v[64:65], v29
	s_waitcnt lgkmcnt(0)
	s_barrier
	buffer_gl0_inv
	ds_write2st64_b64 v46, v[58:59], v[56:57] offset0:4 offset1:6
	v_fma_f32 v57, v73, 2.0, -v59
	v_sub_f32_e32 v49, v43, v69
	v_sub_f32_e32 v68, v44, v68
	;; [unrolled: 1-line block ×3, first 2 shown]
	v_fma_f32 v60, v60, 2.0, -v56
	v_fma_f32 v56, v66, 2.0, -v58
	v_fma_f32 v43, v43, 2.0, -v49
	v_fma_f32 v44, v44, 2.0, -v68
	v_fma_f32 v66, v71, 2.0, -v59
	v_sub_f32_e32 v58, v49, v47
	v_add_f32_e32 v59, v68, v59
	ds_write2st64_b64 v46, v[56:57], v[60:61] offset1:2
	v_sub_f32_e32 v67, v44, v67
	v_sub_f32_e32 v66, v43, v66
	v_fma_f32 v56, v49, 2.0, -v58
	v_fma_f32 v57, v68, 2.0, -v59
	v_sub_f32_e32 v45, v63, v45
	v_fma_f32 v61, v44, 2.0, -v67
	v_fma_f32 v60, v43, 2.0, -v66
	v_sub_f32_e32 v48, v65, v48
	v_and_b32_e32 v47, 15, v5
	v_fma_f32 v63, v63, 2.0, -v45
	v_lshlrev_b32_e32 v69, 7, v33
	ds_write2st64_b64 v46, v[60:61], v[56:57] offset0:8 offset1:10
	v_sub_f32_e32 v56, v62, v51
	v_sub_f32_e32 v51, v42, v55
	;; [unrolled: 1-line block ×3, first 2 shown]
	v_fma_f32 v55, v38, 2.0, -v53
	v_fma_f32 v65, v65, 2.0, -v48
	;; [unrolled: 1-line block ×4, first 2 shown]
	v_sub_f32_e32 v50, v56, v53
	v_fma_f32 v64, v64, 2.0, -v60
	v_fma_f32 v57, v39, 2.0, -v52
	v_add_f32_e32 v51, v45, v51
	v_sub_f32_e32 v38, v60, v52
	v_sub_f32_e32 v52, v62, v42
	;; [unrolled: 1-line block ×3, first 2 shown]
	v_and_b32_e32 v49, 23, v1
	v_add_f32_e32 v39, v48, v54
	v_fma_f32 v54, v56, 2.0, -v50
	v_sub_f32_e32 v56, v64, v40
	v_sub_f32_e32 v57, v65, v57
	v_lshlrev_b32_e32 v68, 3, v47
	v_add3_u32 v44, 0, v69, v41
	v_fma_f32 v55, v45, 2.0, -v51
	v_fma_f32 v62, v62, 2.0, -v52
	;; [unrolled: 1-line block ×7, first 2 shown]
	v_lshlrev_b32_e32 v40, 3, v49
	v_lshlrev_b32_e32 v43, 3, v34
	ds_write2st64_b64 v46, v[66:67], v[58:59] offset0:12 offset1:14
	ds_write2st64_b64 v44, v[62:63], v[54:55] offset1:2
	ds_write2st64_b64 v44, v[52:53], v[50:51] offset0:4 offset1:6
	ds_write2st64_b64 v46, v[64:65], v[60:61] offset0:24 offset1:26
	ds_write2st64_b64 v46, v[56:57], v[38:39] offset0:28 offset1:30
	s_waitcnt lgkmcnt(0)
	s_barrier
	buffer_gl0_inv
	global_load_dwordx2 v[38:39], v68, s[12:13] offset:192
	v_lshlrev_b32_e32 v45, 3, v6
	s_clause 0x3
	global_load_dwordx2 v[58:59], v40, s[12:13] offset:192
	global_load_dword v42, v43, s[12:13] offset:192
	global_load_dword v60, v45, s[12:13] offset:192
	;; [unrolled: 1-line block ×3, first 2 shown]
	ds_read2st64_b64 v[50:53], v37 offset0:18 offset1:20
	global_load_dword v40, v40, s[12:13] offset:196
	ds_read2st64_b64 v[54:57], v37 offset0:26 offset1:28
	v_and_b32_e32 v72, 31, v36
	v_lshlrev_b32_e32 v48, 3, v27
	v_mul_lo_u32 v6, v0, v6
	v_mul_lo_u32 v27, v0, v27
	v_lshlrev_b32_e32 v63, 3, v72
	global_load_dword v84, v63, s[12:13] offset:196
	s_waitcnt vmcnt(6) lgkmcnt(1)
	v_mul_f32_e32 v62, v39, v51
	v_mul_f32_e32 v73, v39, v50
	s_waitcnt vmcnt(5)
	v_mul_f32_e32 v39, v59, v53
	v_mul_f32_e32 v74, v59, v52
	s_waitcnt vmcnt(2) lgkmcnt(0)
	v_mul_f32_e32 v77, v54, v61
	v_fma_f32 v75, v42, v50, -v62
	v_fmac_f32_e32 v73, v42, v51
	v_fma_f32 v76, v60, v52, -v39
	v_fmac_f32_e32 v74, v60, v53
	global_load_dwordx2 v[59:60], v63, s[12:13] offset:192
	v_mul_f32_e32 v39, v55, v61
	global_load_dword v61, v48, s[12:13] offset:192
	v_lshlrev_b32_e32 v42, 3, v31
	v_fmac_f32_e32 v77, v55, v38
	v_fma_f32 v78, v54, v38, -v39
	global_load_dwordx2 v[38:39], v42, s[12:13] offset:192
	s_waitcnt vmcnt(4)
	v_mul_f32_e32 v50, v57, v40
	v_mul_f32_e32 v79, v56, v40
	v_fma_f32 v80, v56, v58, -v50
	ds_read2st64_b64 v[50:53], v37 offset0:22 offset1:24
	v_fmac_f32_e32 v79, v57, v58
	s_waitcnt vmcnt(2) lgkmcnt(0)
	v_mul_f32_e32 v40, v60, v51
	v_mul_f32_e32 v58, v60, v50
	s_waitcnt vmcnt(1)
	v_fma_f32 v81, v61, v50, -v40
	v_fmac_f32_e32 v58, v61, v51
	s_waitcnt vmcnt(0)
	v_mul_f32_e32 v40, v53, v39
	v_mul_f32_e32 v83, v52, v39
	v_fma_f32 v82, v52, v38, -v40
	v_fmac_f32_e32 v83, v53, v38
	ds_read2st64_b64 v[50:53], v37 offset1:16
	s_waitcnt lgkmcnt(0)
	v_mul_f32_e32 v40, v39, v53
	v_mul_f32_e32 v39, v39, v52
	v_fma_f32 v40, v38, v52, -v40
	v_fmac_f32_e32 v39, v38, v53
	v_lshlrev_b32_e32 v38, 7, v5
	v_sub_f32_e32 v52, v50, v40
	v_sub_f32_e32 v53, v51, v39
	v_add3_u32 v39, 0, v38, v41
	v_lshlrev_b32_e32 v38, 7, v1
	v_fma_f32 v50, v50, 2.0, -v52
	v_fma_f32 v51, v51, 2.0, -v53
	v_add3_u32 v40, 0, v38, v41
	v_lshlrev_b32_e32 v38, 7, v36
	v_add3_u32 v38, 0, v38, v41
	ds_read_b64 v[54:55], v28
	ds_read_b64 v[56:57], v30
	;; [unrolled: 1-line block ×7, first 2 shown]
	ds_read_b64 v[70:71], v37 offset:15360
	s_waitcnt lgkmcnt(0)
	s_barrier
	buffer_gl0_inv
	ds_write2st64_b64 v46, v[50:51], v[52:53] offset1:8
	v_lshlrev_b32_e32 v46, 7, v34
	v_mul_lo_u32 v34, v0, v34
	v_add3_u32 v46, 0, v46, v41
	v_sub_f32_e32 v50, v54, v75
	v_sub_f32_e32 v51, v55, v73
	v_fma_f32 v52, v54, 2.0, -v50
	v_fma_f32 v53, v55, 2.0, -v51
	v_mul_f32_e32 v54, v70, v84
	ds_write2st64_b64 v46, v[52:53], v[50:51] offset1:8
	v_sub_f32_e32 v50, v56, v76
	v_sub_f32_e32 v51, v57, v74
	v_mul_f32_e32 v46, v71, v84
	v_fmac_f32_e32 v54, v71, v59
	v_fma_f32 v52, v56, 2.0, -v50
	v_fma_f32 v53, v57, 2.0, -v51
	v_fma_f32 v55, v70, v59, -v46
	v_lshlrev_b32_e32 v46, 7, v47
	v_lshlrev_b32_e32 v47, 7, v49
	;; [unrolled: 1-line block ×3, first 2 shown]
	ds_write2st64_b64 v30, v[52:53], v[50:51] offset1:8
	v_sub_f32_e32 v50, v60, v81
	v_sub_f32_e32 v51, v61, v58
	v_add3_u32 v70, 0, v46, v41
	v_add3_u32 v71, 0, v47, v41
	v_sub_f32_e32 v46, v62, v82
	v_fma_f32 v52, v60, 2.0, -v50
	v_fma_f32 v53, v61, 2.0, -v51
	v_sub_f32_e32 v47, v63, v83
	v_add3_u32 v41, 0, v49, v41
	v_sub_f32_e32 v49, v64, v78
	v_sub_f32_e32 v54, v69, v54
	ds_write2st64_b64 v29, v[52:53], v[50:51] offset1:8
	v_sub_f32_e32 v50, v65, v77
	v_sub_f32_e32 v51, v66, v80
	;; [unrolled: 1-line block ×4, first 2 shown]
	v_fma_f32 v55, v62, 2.0, -v46
	v_fma_f32 v56, v63, 2.0, -v47
	v_fma_f32 v57, v64, 2.0, -v49
	v_fma_f32 v58, v65, 2.0, -v50
	v_fma_f32 v59, v66, 2.0, -v51
	v_fma_f32 v60, v67, 2.0, -v52
	v_fma_f32 v61, v68, 2.0, -v53
	v_fma_f32 v62, v69, 2.0, -v54
	ds_write2st64_b64 v44, v[55:56], v[46:47] offset1:8
	ds_write2st64_b64 v70, v[57:58], v[49:50] offset0:16 offset1:24
	ds_write2st64_b64 v71, v[59:60], v[51:52] offset0:16 offset1:24
	ds_write2st64_b64 v41, v[61:62], v[53:54] offset0:16 offset1:24
	s_waitcnt lgkmcnt(0)
	s_barrier
	buffer_gl0_inv
	s_clause 0x1
	global_load_dwordx2 v[49:50], v43, s[12:13] offset:448
	global_load_dwordx2 v[59:60], v45, s[12:13] offset:448
	v_lshlrev_b32_e32 v41, 3, v2
	s_clause 0x1
	global_load_dwordx2 v[61:62], v48, s[12:13] offset:448
	global_load_dwordx2 v[63:64], v41, s[12:13] offset:448
	v_lshlrev_b32_e32 v41, 3, v5
	v_lshlrev_b32_e32 v43, 3, v1
	s_clause 0x1
	global_load_dwordx2 v[65:66], v41, s[12:13] offset:448
	global_load_dwordx2 v[67:68], v43, s[12:13] offset:448
	v_lshlrev_b32_e32 v41, 3, v36
	v_mul_lo_u32 v54, v0, v31
	v_mul_lo_u32 v2, v0, v2
	;; [unrolled: 1-line block ×4, first 2 shown]
	global_load_dwordx2 v[69:70], v41, s[12:13] offset:448
	ds_read2st64_b64 v[43:46], v37 offset0:18 offset1:20
	ds_read2st64_b64 v[55:58], v37 offset0:22 offset1:24
	v_mul_lo_u32 v36, v0, v36
	v_lshlrev_b32_sdwa v85, v86, v36 dst_sel:DWORD dst_unused:UNUSED_PAD src0_sel:DWORD src1_sel:BYTE_0
	s_waitcnt vmcnt(6) lgkmcnt(1)
	v_mul_f32_e32 v41, v50, v44
	v_mul_f32_e32 v52, v50, v43
	s_waitcnt vmcnt(5)
	v_mul_f32_e32 v47, v60, v46
	v_mul_f32_e32 v48, v60, v45
	v_fma_f32 v53, v49, v43, -v41
	v_fmac_f32_e32 v52, v49, v44
	v_fma_f32 v49, v59, v45, -v47
	v_fmac_f32_e32 v48, v59, v46
	ds_read2st64_b64 v[44:47], v37 offset0:26 offset1:28
	s_waitcnt vmcnt(4) lgkmcnt(1)
	v_mul_f32_e32 v50, v62, v55
	v_mul_f32_e32 v41, v62, v56
	s_waitcnt vmcnt(3)
	v_mul_f32_e32 v43, v58, v64
	v_mul_f32_e32 v31, v57, v64
	ds_read_b64 v[59:60], v37 offset:15360
	v_fmac_f32_e32 v50, v61, v56
	v_fma_f32 v51, v61, v55, -v41
	v_fma_f32 v41, v57, v63, -v43
	v_bfe_u32 v57, v54, 8, 8
	v_mul_lo_u32 v55, v0, v33
	v_fmac_f32_e32 v31, v58, v63
	v_mul_lo_u32 v0, v0, v35
	v_lshl_or_b32 v61, v57, 3, 0x800
	v_lshlrev_b32_sdwa v63, v86, v55 dst_sel:DWORD dst_unused:UNUSED_PAD src0_sel:DWORD src1_sel:BYTE_0
	s_waitcnt vmcnt(2) lgkmcnt(1)
	v_mul_f32_e32 v56, v45, v66
	v_mul_f32_e32 v33, v44, v66
	s_waitcnt vmcnt(1)
	v_mul_f32_e32 v43, v46, v68
	v_mul_f32_e32 v58, v47, v68
	v_lshlrev_b32_sdwa v35, v86, v0 dst_sel:DWORD dst_unused:UNUSED_PAD src0_sel:DWORD src1_sel:BYTE_0
	v_fma_f32 v44, v44, v65, -v56
	v_lshlrev_b32_sdwa v56, v86, v54 dst_sel:DWORD dst_unused:UNUSED_PAD src0_sel:DWORD src1_sel:BYTE_0
	v_fmac_f32_e32 v43, v47, v67
	v_bfe_u32 v47, v55, 8, 8
	s_clause 0x1
	global_load_dwordx2 v[56:57], v56, s[4:5]
	global_load_dwordx2 v[61:62], v61, s[4:5]
	v_fmac_f32_e32 v33, v45, v65
	v_lshl_or_b32 v65, v47, 3, 0x800
	global_load_dwordx2 v[63:64], v63, s[4:5]
	v_fma_f32 v45, v46, v67, -v58
	s_waitcnt vmcnt(3) lgkmcnt(0)
	v_mul_f32_e32 v58, v60, v70
	v_mul_f32_e32 v46, v59, v70
	global_load_dwordx2 v[65:66], v65, s[4:5]
	v_fma_f32 v47, v59, v69, -v58
	v_fmac_f32_e32 v46, v60, v69
	v_bfe_u32 v60, v34, 8, 8
	v_lshl_or_b32 v60, v60, 3, 0x800
	s_waitcnt vmcnt(2)
	v_mul_f32_e32 v58, v56, v62
	v_mul_f32_e32 v59, v57, v62
	v_fmac_f32_e32 v58, v57, v61
	v_lshlrev_b32_sdwa v57, v86, v34 dst_sel:DWORD dst_unused:UNUSED_PAD src0_sel:DWORD src1_sel:BYTE_0
	v_fma_f32 v59, v56, v61, -v59
	v_bfe_u32 v34, v34, 16, 8
	global_load_dwordx2 v[61:62], v57, s[4:5]
	s_waitcnt vmcnt(1)
	v_mul_f32_e32 v67, v64, v66
	v_mul_f32_e32 v56, v63, v66
	v_lshl_or_b32 v34, v34, 3, 0x1000
	v_fma_f32 v57, v63, v65, -v67
	v_fmac_f32_e32 v56, v64, v65
	global_load_dwordx2 v[64:65], v60, s[4:5]
	s_waitcnt vmcnt(0)
	v_mul_f32_e32 v63, v62, v65
	v_mul_f32_e32 v60, v61, v65
	v_bfe_u32 v65, v32, 8, 8
	v_fma_f32 v63, v61, v64, -v63
	v_lshlrev_b32_sdwa v61, v86, v32 dst_sel:DWORD dst_unused:UNUSED_PAD src0_sel:DWORD src1_sel:BYTE_0
	v_fmac_f32_e32 v60, v62, v64
	v_lshl_or_b32 v62, v65, 3, 0x800
	s_clause 0x1
	global_load_dwordx2 v[64:65], v61, s[4:5]
	global_load_dwordx2 v[66:67], v62, s[4:5]
	v_bfe_u32 v32, v32, 16, 8
	v_lshl_or_b32 v32, v32, 3, 0x1000
	s_waitcnt vmcnt(0)
	v_mul_f32_e32 v61, v65, v67
	v_mul_f32_e32 v62, v64, v67
	v_fma_f32 v61, v64, v66, -v61
	v_bfe_u32 v64, v6, 8, 8
	v_fmac_f32_e32 v62, v65, v66
	v_lshlrev_b32_sdwa v65, v86, v6 dst_sel:DWORD dst_unused:UNUSED_PAD src0_sel:DWORD src1_sel:BYTE_0
	v_bfe_u32 v6, v6, 16, 8
	v_lshl_or_b32 v64, v64, 3, 0x800
	s_clause 0x1
	global_load_dwordx2 v[65:66], v65, s[4:5]
	global_load_dwordx2 v[67:68], v64, s[4:5]
	v_lshl_or_b32 v6, v6, 3, 0x1000
	s_waitcnt vmcnt(0)
	v_mul_f32_e32 v64, v66, v68
	v_fma_f32 v64, v65, v67, -v64
	v_mul_f32_e32 v65, v65, v68
	v_fmac_f32_e32 v65, v66, v67
	v_bfe_u32 v66, v25, 8, 8
	v_lshlrev_b32_sdwa v67, v86, v25 dst_sel:DWORD dst_unused:UNUSED_PAD src0_sel:DWORD src1_sel:BYTE_0
	v_lshl_or_b32 v66, v66, 3, 0x800
	s_clause 0x1
	global_load_dwordx2 v[67:68], v67, s[4:5]
	global_load_dwordx2 v[69:70], v66, s[4:5]
	s_waitcnt vmcnt(0)
	v_mul_f32_e32 v66, v68, v70
	v_fma_f32 v66, v67, v69, -v66
	v_mul_f32_e32 v67, v67, v70
	v_fmac_f32_e32 v67, v68, v69
	v_bfe_u32 v68, v27, 8, 8
	v_lshlrev_b32_sdwa v69, v86, v27 dst_sel:DWORD dst_unused:UNUSED_PAD src0_sel:DWORD src1_sel:BYTE_0
	v_lshl_or_b32 v68, v68, 3, 0x800
	s_clause 0x1
	global_load_dwordx2 v[69:70], v69, s[4:5]
	global_load_dwordx2 v[71:72], v68, s[4:5]
	;; [unrolled: 11-line block ×3, first 2 shown]
	s_waitcnt vmcnt(0)
	v_mul_f32_e32 v70, v72, v74
	v_fma_f32 v70, v71, v73, -v70
	v_mul_f32_e32 v71, v71, v74
	v_fmac_f32_e32 v71, v72, v73
	v_bfe_u32 v72, v2, 8, 8
	v_lshlrev_b32_sdwa v73, v86, v2 dst_sel:DWORD dst_unused:UNUSED_PAD src0_sel:DWORD src1_sel:BYTE_0
	v_bfe_u32 v2, v2, 16, 8
	v_lshl_or_b32 v72, v72, 3, 0x800
	s_clause 0x1
	global_load_dwordx2 v[73:74], v73, s[4:5]
	global_load_dwordx2 v[75:76], v72, s[4:5]
	v_lshl_or_b32 v2, v2, 3, 0x1000
	s_waitcnt vmcnt(0)
	v_mul_f32_e32 v72, v74, v76
	v_fma_f32 v72, v73, v75, -v72
	v_mul_f32_e32 v73, v73, v76
	v_fmac_f32_e32 v73, v74, v75
	v_bfe_u32 v74, v4, 8, 8
	v_lshlrev_b32_sdwa v75, v86, v4 dst_sel:DWORD dst_unused:UNUSED_PAD src0_sel:DWORD src1_sel:BYTE_0
	v_lshl_or_b32 v74, v74, 3, 0x800
	s_clause 0x1
	global_load_dwordx2 v[75:76], v75, s[4:5]
	global_load_dwordx2 v[77:78], v74, s[4:5]
	s_waitcnt vmcnt(0)
	v_mul_f32_e32 v74, v76, v78
	v_fma_f32 v74, v75, v77, -v74
	v_mul_f32_e32 v75, v75, v78
	v_fmac_f32_e32 v75, v76, v77
	v_bfe_u32 v76, v5, 8, 8
	v_lshlrev_b32_sdwa v77, v86, v5 dst_sel:DWORD dst_unused:UNUSED_PAD src0_sel:DWORD src1_sel:BYTE_0
	v_lshl_or_b32 v76, v76, 3, 0x800
	s_clause 0x1
	global_load_dwordx2 v[77:78], v77, s[4:5]
	global_load_dwordx2 v[79:80], v76, s[4:5]
	s_waitcnt vmcnt(0)
	v_mul_f32_e32 v76, v78, v80
	v_fma_f32 v76, v77, v79, -v76
	v_mul_f32_e32 v77, v77, v80
	v_fmac_f32_e32 v77, v78, v79
	v_bfe_u32 v78, v7, 8, 8
	v_lshlrev_b32_sdwa v79, v86, v7 dst_sel:DWORD dst_unused:UNUSED_PAD src0_sel:DWORD src1_sel:BYTE_0
	v_lshl_or_b32 v78, v78, 3, 0x800
	s_clause 0x1
	global_load_dwordx2 v[79:80], v79, s[4:5]
	global_load_dwordx2 v[81:82], v78, s[4:5]
	s_waitcnt vmcnt(0)
	v_mul_f32_e32 v78, v80, v82
	v_fma_f32 v78, v79, v81, -v78
	v_mul_f32_e32 v79, v79, v82
	v_fmac_f32_e32 v79, v80, v81
	v_bfe_u32 v80, v1, 8, 8
	v_lshlrev_b32_sdwa v81, v86, v1 dst_sel:DWORD dst_unused:UNUSED_PAD src0_sel:DWORD src1_sel:BYTE_0
	v_bfe_u32 v1, v1, 16, 8
	v_lshl_or_b32 v80, v80, 3, 0x800
	s_clause 0x1
	global_load_dwordx2 v[81:82], v81, s[4:5]
	global_load_dwordx2 v[83:84], v80, s[4:5]
	v_lshl_or_b32 v1, v1, 3, 0x1000
	s_waitcnt vmcnt(0)
	v_mul_f32_e32 v80, v82, v84
	v_fma_f32 v80, v81, v83, -v80
	v_mul_f32_e32 v81, v81, v84
	v_fmac_f32_e32 v81, v82, v83
	v_bfe_u32 v82, v3, 8, 8
	v_lshlrev_b32_sdwa v83, v86, v3 dst_sel:DWORD dst_unused:UNUSED_PAD src0_sel:DWORD src1_sel:BYTE_0
	v_bfe_u32 v86, v0, 8, 8
	v_bfe_u32 v0, v0, 16, 8
	v_lshl_or_b32 v82, v82, 3, 0x800
	s_clause 0x1
	global_load_dwordx2 v[83:84], v83, s[4:5]
	global_load_dwordx2 v[87:88], v82, s[4:5]
	v_lshl_or_b32 v86, v86, 3, 0x800
	v_lshl_or_b32 v0, v0, 3, 0x1000
	s_waitcnt vmcnt(0)
	v_mul_f32_e32 v82, v84, v88
	v_fma_f32 v82, v83, v87, -v82
	v_mul_f32_e32 v83, v83, v88
	v_fmac_f32_e32 v83, v84, v87
	v_bfe_u32 v84, v36, 8, 8
	v_lshl_or_b32 v84, v84, 3, 0x800
	s_clause 0x1
	global_load_dwordx2 v[87:88], v85, s[4:5]
	global_load_dwordx2 v[89:90], v84, s[4:5]
	s_waitcnt vmcnt(0)
	v_mul_f32_e32 v84, v88, v90
	v_mul_f32_e32 v85, v87, v90
	v_fma_f32 v84, v87, v89, -v84
	v_fmac_f32_e32 v85, v88, v89
	s_clause 0x1
	global_load_dwordx2 v[87:88], v35, s[4:5]
	global_load_dwordx2 v[89:90], v86, s[4:5]
	global_load_dwordx2 v[92:93], v42, s[12:13] offset:448
	s_waitcnt vmcnt(1)
	v_mul_f32_e32 v35, v88, v90
	v_fma_f32 v86, v87, v89, -v35
	v_mul_f32_e32 v87, v87, v90
	v_fmac_f32_e32 v87, v88, v89
	ds_read2st64_b64 v[88:91], v37 offset1:16
	s_waitcnt vmcnt(0) lgkmcnt(0)
	v_mul_f32_e32 v35, v93, v91
	v_mul_f32_e32 v37, v93, v90
	v_fma_f32 v35, v92, v90, -v35
	v_fmac_f32_e32 v37, v92, v91
	v_sub_f32_e32 v90, v88, v35
	v_bfe_u32 v35, v54, 16, 8
	v_sub_f32_e32 v91, v89, v37
	v_fma_f32 v92, v88, 2.0, -v90
	v_lshl_or_b32 v35, v35, 3, 0x1000
	v_fma_f32 v93, v89, 2.0, -v91
	global_load_dwordx2 v[88:89], v35, s[4:5]
	s_waitcnt vmcnt(0)
	v_mul_f32_e32 v35, v58, v89
	v_mul_f32_e32 v89, v59, v89
	v_fma_f32 v94, v88, v59, -v35
	v_bfe_u32 v35, v55, 16, 8
	v_fmac_f32_e32 v89, v88, v58
	v_lshl_or_b32 v35, v35, 3, 0x1000
	global_load_dwordx2 v[54:55], v35, s[4:5]
	s_waitcnt vmcnt(0)
	v_mul_f32_e32 v35, v56, v55
	v_mul_f32_e32 v95, v57, v55
	v_fma_f32 v88, v54, v57, -v35
	global_load_dwordx2 v[34:35], v34, s[4:5]
	v_fmac_f32_e32 v95, v54, v56
	s_waitcnt vmcnt(0)
	v_mul_f32_e32 v37, v60, v35
	v_mul_f32_e32 v97, v63, v35
	v_fma_f32 v96, v34, v63, -v37
	v_fmac_f32_e32 v97, v34, v60
	global_load_dwordx2 v[34:35], v32, s[4:5]
	s_waitcnt vmcnt(0)
	v_mul_f32_e32 v32, v62, v35
	v_mul_f32_e32 v99, v61, v35
	v_fma_f32 v98, v34, v61, -v32
	v_fmac_f32_e32 v99, v34, v62
	global_load_dwordx2 v[34:35], v6, s[4:5]
	s_waitcnt vmcnt(0)
	v_mul_f32_e32 v6, v65, v35
	v_mul_f32_e32 v101, v64, v35
	v_fma_f32 v100, v34, v64, -v6
	v_bfe_u32 v6, v25, 16, 8
	v_fmac_f32_e32 v101, v34, v65
	v_lshl_or_b32 v6, v6, 3, 0x1000
	global_load_dwordx2 v[34:35], v6, s[4:5]
	s_waitcnt vmcnt(0)
	v_mul_f32_e32 v6, v67, v35
	v_fma_f32 v64, v34, v66, -v6
	v_bfe_u32 v6, v27, 16, 8
	v_mul_f32_e32 v66, v66, v35
	v_lshl_or_b32 v6, v6, 3, 0x1000
	v_fmac_f32_e32 v66, v34, v67
	global_load_dwordx2 v[34:35], v6, s[4:5]
	s_waitcnt vmcnt(0)
	v_mul_f32_e32 v6, v69, v35
	v_mul_f32_e32 v65, v68, v35
	v_fma_f32 v55, v34, v68, -v6
	v_bfe_u32 v6, v26, 16, 8
	v_fmac_f32_e32 v65, v34, v69
	v_lshl_or_b32 v6, v6, 3, 0x1000
	global_load_dwordx2 v[25:26], v6, s[4:5]
	s_waitcnt vmcnt(0)
	v_mul_f32_e32 v6, v71, v26
	v_mul_f32_e32 v56, v70, v26
	v_fma_f32 v54, v25, v70, -v6
	v_fmac_f32_e32 v56, v25, v71
	global_load_dwordx2 v[25:26], v2, s[4:5]
	s_waitcnt vmcnt(0)
	v_mul_f32_e32 v2, v73, v26
	v_mul_f32_e32 v57, v72, v26
	v_fma_f32 v42, v25, v72, -v2
	v_bfe_u32 v2, v4, 16, 8
	v_fmac_f32_e32 v57, v25, v73
	v_lshl_or_b32 v2, v2, 3, 0x1000
	global_load_dwordx2 v[25:26], v2, s[4:5]
	s_waitcnt vmcnt(0)
	v_mul_f32_e32 v2, v75, v26
	v_mul_f32_e32 v58, v74, v26
	v_fma_f32 v37, v25, v74, -v2
	v_bfe_u32 v2, v5, 16, 8
	v_fmac_f32_e32 v58, v25, v75
	v_lshl_or_b32 v2, v2, 3, 0x1000
	;; [unrolled: 8-line block ×3, first 2 shown]
	global_load_dwordx2 v[4:5], v2, s[4:5]
	s_waitcnt vmcnt(0)
	v_mul_f32_e32 v2, v79, v5
	v_mul_f32_e32 v60, v78, v5
	v_fma_f32 v25, v4, v78, -v2
	global_load_dwordx2 v[1:2], v1, s[4:5]
	v_fmac_f32_e32 v60, v4, v79
	s_waitcnt vmcnt(0)
	v_mul_f32_e32 v4, v81, v2
	v_mul_f32_e32 v61, v80, v2
	v_fma_f32 v26, v1, v80, -v4
	v_fmac_f32_e32 v61, v1, v81
	v_bfe_u32 v1, v3, 16, 8
	ds_read_b64 v[4:5], v28
	v_lshl_or_b32 v1, v1, 3, 0x1000
	global_load_dwordx2 v[1:2], v1, s[4:5]
	s_waitcnt lgkmcnt(0)
	v_sub_f32_e32 v28, v5, v52
	v_sub_f32_e32 v6, v4, v53
	v_fma_f32 v7, v5, 2.0, -v28
	v_fma_f32 v4, v4, 2.0, -v6
	v_mul_f32_e32 v52, v7, v97
	v_mul_f32_e32 v5, v4, v97
	v_fma_f32 v4, v4, v96, -v52
	v_mul_f32_e32 v52, v28, v99
	v_fmac_f32_e32 v5, v7, v96
	v_mul_f32_e32 v7, v6, v99
	v_fma_f32 v6, v6, v98, -v52
	ds_read_b64 v[52:53], v30
	v_fmac_f32_e32 v7, v28, v98
	s_waitcnt lgkmcnt(0)
	v_sub_f32_e32 v30, v53, v48
	v_sub_f32_e32 v67, v52, v49
	v_fma_f32 v53, v53, 2.0, -v30
	v_fma_f32 v48, v52, 2.0, -v67
	v_mul_f32_e32 v28, v53, v101
	v_mul_f32_e32 v49, v48, v101
	v_fma_f32 v48, v48, v100, -v28
	ds_read_b64 v[28:29], v29
	v_fmac_f32_e32 v49, v53, v100
	ds_read_b64 v[52:53], v39
	ds_read_b64 v[39:40], v40
	s_waitcnt lgkmcnt(2)
	v_sub_f32_e32 v68, v28, v51
	v_sub_f32_e32 v69, v29, v50
	ds_read_b64 v[50:51], v24
	s_waitcnt lgkmcnt(2)
	v_sub_f32_e32 v72, v53, v33
	v_sub_f32_e32 v44, v52, v44
	v_fma_f32 v70, v28, 2.0, -v68
	v_mul_f32_e32 v28, v30, v66
	v_fma_f32 v71, v29, 2.0, -v69
	v_mul_f32_e32 v29, v67, v66
	v_fma_f32 v28, v67, v64, -v28
	ds_read_b64 v[66:67], v38
	v_mul_f32_e32 v24, v71, v65
	v_fmac_f32_e32 v29, v30, v64
	v_mul_f32_e32 v65, v70, v65
	s_waitcnt lgkmcnt(2)
	v_sub_f32_e32 v73, v39, v45
	v_sub_f32_e32 v74, v40, v43
	v_fma_f32 v64, v70, v55, -v24
	v_mul_f32_e32 v30, v69, v56
	v_fmac_f32_e32 v65, v71, v55
	s_waitcnt lgkmcnt(1)
	v_sub_f32_e32 v24, v50, v41
	v_sub_f32_e32 v70, v51, v31
	v_mul_f32_e32 v31, v68, v56
	v_fma_f32 v30, v68, v54, -v30
	v_fma_f32 v33, v50, 2.0, -v24
	v_fma_f32 v45, v51, 2.0, -v70
	v_fma_f32 v50, v53, 2.0, -v72
	v_fma_f32 v53, v40, 2.0, -v74
	v_mul_f32_e32 v40, v70, v58
	s_waitcnt lgkmcnt(0)
	v_sub_f32_e32 v75, v66, v47
	v_sub_f32_e32 v76, v67, v46
	v_fma_f32 v46, v52, 2.0, -v44
	v_fma_f32 v52, v39, 2.0, -v73
	v_mul_f32_e32 v38, v45, v57
	v_fma_f32 v66, v66, 2.0, -v75
	v_fma_f32 v67, v67, 2.0, -v76
	v_mul_f32_e32 v39, v33, v57
	v_mul_f32_e32 v41, v24, v58
	;; [unrolled: 1-line block ×3, first 2 shown]
	v_fmac_f32_e32 v31, v69, v54
	v_fma_f32 v38, v33, v42, -v38
	v_mul_f32_e32 v43, v46, v59
	v_mul_f32_e32 v54, v72, v60
	v_fmac_f32_e32 v39, v45, v42
	v_mul_f32_e32 v33, v44, v60
	v_mul_f32_e32 v55, v53, v61
	v_fma_f32 v40, v24, v37, -v40
	v_mul_f32_e32 v45, v52, v61
	v_fmac_f32_e32 v41, v70, v37
	v_fma_f32 v42, v46, v32, -v47
	v_fmac_f32_e32 v43, v50, v32
	v_fma_f32 v32, v44, v25, -v54
	v_fmac_f32_e32 v33, v72, v25
	v_fma_f32 v44, v52, v26, -v55
	v_fmac_f32_e32 v45, v53, v26
	s_waitcnt vmcnt(0)
	v_mul_f32_e32 v3, v83, v2
	v_mul_f32_e32 v62, v82, v2
	v_fma_f32 v27, v1, v82, -v3
	v_fmac_f32_e32 v62, v1, v83
	v_bfe_u32 v1, v36, 16, 8
	v_mul_f32_e32 v24, v74, v62
	v_lshl_or_b32 v1, v1, 3, 0x1000
	v_mul_f32_e32 v37, v73, v62
	global_load_dwordx2 v[1:2], v1, s[4:5]
	v_fmac_f32_e32 v37, v74, v27
	s_waitcnt vmcnt(0)
	v_mul_f32_e32 v3, v85, v2
	v_mul_f32_e32 v63, v84, v2
	v_fma_f32 v35, v1, v84, -v3
	v_fmac_f32_e32 v63, v1, v85
	global_load_dwordx2 v[0:1], v0, s[4:5]
	v_mul_f32_e32 v3, v90, v95
	v_mul_f32_e32 v56, v67, v63
	;; [unrolled: 1-line block ×3, first 2 shown]
	v_fmac_f32_e32 v3, v91, v88
	v_fma_f32 v46, v66, v35, -v56
	v_fmac_f32_e32 v47, v67, v35
	s_waitcnt vmcnt(0)
	v_mul_f32_e32 v2, v87, v1
	v_mul_f32_e32 v36, v86, v1
	;; [unrolled: 1-line block ×3, first 2 shown]
	v_fma_f32 v34, v0, v86, -v2
	v_fmac_f32_e32 v36, v0, v87
	v_mul_f32_e32 v0, v93, v89
	v_mul_f32_e32 v2, v91, v95
	v_fmac_f32_e32 v1, v93, v94
	v_mul_f32_e32 v57, v76, v36
	v_fma_f32 v0, v92, v94, -v0
	v_mul_f32_e32 v51, v75, v36
	v_fma_f32 v2, v90, v88, -v2
	v_fma_f32 v36, v73, v27, -v24
	;; [unrolled: 1-line block ×3, first 2 shown]
	v_fmac_f32_e32 v51, v76, v34
	buffer_store_dwordx2 v[0:1], v9, s[0:3], s6 offen
	buffer_store_dwordx2 v[2:3], v14, s[0:3], s6 offen
	;; [unrolled: 1-line block ×16, first 2 shown]
	s_endpgm
	.section	.rodata,"a",@progbits
	.p2align	6, 0x0
	.amdhsa_kernel fft_rtc_fwd_len128_factors_8_4_2_2_wgs_128_tpt_8_dim3_sp_ip_CI_sbcc_twdbase8_3step_dirReg_intrinsicReadWrite
		.amdhsa_group_segment_fixed_size 0
		.amdhsa_private_segment_fixed_size 0
		.amdhsa_kernarg_size 88
		.amdhsa_user_sgpr_count 6
		.amdhsa_user_sgpr_private_segment_buffer 1
		.amdhsa_user_sgpr_dispatch_ptr 0
		.amdhsa_user_sgpr_queue_ptr 0
		.amdhsa_user_sgpr_kernarg_segment_ptr 1
		.amdhsa_user_sgpr_dispatch_id 0
		.amdhsa_user_sgpr_flat_scratch_init 0
		.amdhsa_user_sgpr_private_segment_size 0
		.amdhsa_wavefront_size32 1
		.amdhsa_uses_dynamic_stack 0
		.amdhsa_system_sgpr_private_segment_wavefront_offset 0
		.amdhsa_system_sgpr_workgroup_id_x 1
		.amdhsa_system_sgpr_workgroup_id_y 0
		.amdhsa_system_sgpr_workgroup_id_z 0
		.amdhsa_system_sgpr_workgroup_info 0
		.amdhsa_system_vgpr_workitem_id 0
		.amdhsa_next_free_vgpr 102
		.amdhsa_next_free_sgpr 28
		.amdhsa_reserve_vcc 1
		.amdhsa_reserve_flat_scratch 0
		.amdhsa_float_round_mode_32 0
		.amdhsa_float_round_mode_16_64 0
		.amdhsa_float_denorm_mode_32 3
		.amdhsa_float_denorm_mode_16_64 3
		.amdhsa_dx10_clamp 1
		.amdhsa_ieee_mode 1
		.amdhsa_fp16_overflow 0
		.amdhsa_workgroup_processor_mode 1
		.amdhsa_memory_ordered 1
		.amdhsa_forward_progress 0
		.amdhsa_shared_vgpr_count 0
		.amdhsa_exception_fp_ieee_invalid_op 0
		.amdhsa_exception_fp_denorm_src 0
		.amdhsa_exception_fp_ieee_div_zero 0
		.amdhsa_exception_fp_ieee_overflow 0
		.amdhsa_exception_fp_ieee_underflow 0
		.amdhsa_exception_fp_ieee_inexact 0
		.amdhsa_exception_int_div_zero 0
	.end_amdhsa_kernel
	.text
.Lfunc_end0:
	.size	fft_rtc_fwd_len128_factors_8_4_2_2_wgs_128_tpt_8_dim3_sp_ip_CI_sbcc_twdbase8_3step_dirReg_intrinsicReadWrite, .Lfunc_end0-fft_rtc_fwd_len128_factors_8_4_2_2_wgs_128_tpt_8_dim3_sp_ip_CI_sbcc_twdbase8_3step_dirReg_intrinsicReadWrite
                                        ; -- End function
	.section	.AMDGPU.csdata,"",@progbits
; Kernel info:
; codeLenInByte = 6824
; NumSgprs: 30
; NumVgprs: 102
; ScratchSize: 0
; MemoryBound: 0
; FloatMode: 240
; IeeeMode: 1
; LDSByteSize: 0 bytes/workgroup (compile time only)
; SGPRBlocks: 3
; VGPRBlocks: 12
; NumSGPRsForWavesPerEU: 30
; NumVGPRsForWavesPerEU: 102
; Occupancy: 9
; WaveLimiterHint : 0
; COMPUTE_PGM_RSRC2:SCRATCH_EN: 0
; COMPUTE_PGM_RSRC2:USER_SGPR: 6
; COMPUTE_PGM_RSRC2:TRAP_HANDLER: 0
; COMPUTE_PGM_RSRC2:TGID_X_EN: 1
; COMPUTE_PGM_RSRC2:TGID_Y_EN: 0
; COMPUTE_PGM_RSRC2:TGID_Z_EN: 0
; COMPUTE_PGM_RSRC2:TIDIG_COMP_CNT: 0
	.text
	.p2alignl 6, 3214868480
	.fill 48, 4, 3214868480
	.type	__hip_cuid_c184c0c7c4962608,@object ; @__hip_cuid_c184c0c7c4962608
	.section	.bss,"aw",@nobits
	.globl	__hip_cuid_c184c0c7c4962608
__hip_cuid_c184c0c7c4962608:
	.byte	0                               ; 0x0
	.size	__hip_cuid_c184c0c7c4962608, 1

	.ident	"AMD clang version 19.0.0git (https://github.com/RadeonOpenCompute/llvm-project roc-6.4.0 25133 c7fe45cf4b819c5991fe208aaa96edf142730f1d)"
	.section	".note.GNU-stack","",@progbits
	.addrsig
	.addrsig_sym __hip_cuid_c184c0c7c4962608
	.amdgpu_metadata
---
amdhsa.kernels:
  - .args:
      - .actual_access:  read_only
        .address_space:  global
        .offset:         0
        .size:           8
        .value_kind:     global_buffer
      - .address_space:  global
        .offset:         8
        .size:           8
        .value_kind:     global_buffer
      - .actual_access:  read_only
        .address_space:  global
        .offset:         16
        .size:           8
        .value_kind:     global_buffer
      - .actual_access:  read_only
        .address_space:  global
        .offset:         24
        .size:           8
        .value_kind:     global_buffer
      - .offset:         32
        .size:           8
        .value_kind:     by_value
      - .actual_access:  read_only
        .address_space:  global
        .offset:         40
        .size:           8
        .value_kind:     global_buffer
      - .actual_access:  read_only
        .address_space:  global
        .offset:         48
        .size:           8
        .value_kind:     global_buffer
      - .offset:         56
        .size:           4
        .value_kind:     by_value
      - .actual_access:  read_only
        .address_space:  global
        .offset:         64
        .size:           8
        .value_kind:     global_buffer
      - .actual_access:  read_only
        .address_space:  global
        .offset:         72
        .size:           8
        .value_kind:     global_buffer
      - .address_space:  global
        .offset:         80
        .size:           8
        .value_kind:     global_buffer
    .group_segment_fixed_size: 0
    .kernarg_segment_align: 8
    .kernarg_segment_size: 88
    .language:       OpenCL C
    .language_version:
      - 2
      - 0
    .max_flat_workgroup_size: 128
    .name:           fft_rtc_fwd_len128_factors_8_4_2_2_wgs_128_tpt_8_dim3_sp_ip_CI_sbcc_twdbase8_3step_dirReg_intrinsicReadWrite
    .private_segment_fixed_size: 0
    .sgpr_count:     30
    .sgpr_spill_count: 0
    .symbol:         fft_rtc_fwd_len128_factors_8_4_2_2_wgs_128_tpt_8_dim3_sp_ip_CI_sbcc_twdbase8_3step_dirReg_intrinsicReadWrite.kd
    .uniform_work_group_size: 1
    .uses_dynamic_stack: false
    .vgpr_count:     102
    .vgpr_spill_count: 0
    .wavefront_size: 32
    .workgroup_processor_mode: 1
amdhsa.target:   amdgcn-amd-amdhsa--gfx1030
amdhsa.version:
  - 1
  - 2
...

	.end_amdgpu_metadata
